;; amdgpu-corpus repo=ROCm/rocFFT kind=compiled arch=gfx1201 opt=O3
	.text
	.amdgcn_target "amdgcn-amd-amdhsa--gfx1201"
	.amdhsa_code_object_version 6
	.protected	fft_rtc_fwd_len1120_factors_2_2_2_2_2_5_7_wgs_224_tpt_224_halfLds_dp_ip_CI_sbrr_dirReg ; -- Begin function fft_rtc_fwd_len1120_factors_2_2_2_2_2_5_7_wgs_224_tpt_224_halfLds_dp_ip_CI_sbrr_dirReg
	.globl	fft_rtc_fwd_len1120_factors_2_2_2_2_2_5_7_wgs_224_tpt_224_halfLds_dp_ip_CI_sbrr_dirReg
	.p2align	8
	.type	fft_rtc_fwd_len1120_factors_2_2_2_2_2_5_7_wgs_224_tpt_224_halfLds_dp_ip_CI_sbrr_dirReg,@function
fft_rtc_fwd_len1120_factors_2_2_2_2_2_5_7_wgs_224_tpt_224_halfLds_dp_ip_CI_sbrr_dirReg: ; @fft_rtc_fwd_len1120_factors_2_2_2_2_2_5_7_wgs_224_tpt_224_halfLds_dp_ip_CI_sbrr_dirReg
; %bb.0:
	s_clause 0x2
	s_load_b64 s[12:13], s[0:1], 0x18
	s_load_b128 s[4:7], s[0:1], 0x0
	s_load_b64 s[8:9], s[0:1], 0x50
	v_mul_u32_u24_e32 v1, 0x125, v0
	v_mov_b32_e32 v3, 0
	s_delay_alu instid0(VALU_DEP_2) | instskip(NEXT) | instid1(VALU_DEP_1)
	v_lshrrev_b32_e32 v1, 16, v1
	v_add_nc_u32_e32 v5, ttmp9, v1
	v_mov_b32_e32 v1, 0
	v_mov_b32_e32 v2, 0
	;; [unrolled: 1-line block ×3, first 2 shown]
	s_wait_kmcnt 0x0
	s_load_b64 s[10:11], s[12:13], 0x0
	v_cmp_lt_u64_e64 s2, s[6:7], 2
	s_delay_alu instid0(VALU_DEP_1)
	s_and_b32 vcc_lo, exec_lo, s2
	s_cbranch_vccnz .LBB0_8
; %bb.1:
	s_load_b64 s[2:3], s[0:1], 0x10
	v_mov_b32_e32 v1, 0
	v_mov_b32_e32 v2, 0
	s_add_nc_u64 s[14:15], s[12:13], 8
	s_mov_b64 s[16:17], 1
	s_wait_kmcnt 0x0
	s_add_nc_u64 s[18:19], s[2:3], 8
	s_mov_b32 s3, 0
.LBB0_2:                                ; =>This Inner Loop Header: Depth=1
	s_load_b64 s[20:21], s[18:19], 0x0
                                        ; implicit-def: $vgpr7_vgpr8
	s_mov_b32 s2, exec_lo
	s_wait_kmcnt 0x0
	v_or_b32_e32 v4, s21, v6
	s_delay_alu instid0(VALU_DEP_1)
	v_cmpx_ne_u64_e32 0, v[3:4]
	s_wait_alu 0xfffe
	s_xor_b32 s22, exec_lo, s2
	s_cbranch_execz .LBB0_4
; %bb.3:                                ;   in Loop: Header=BB0_2 Depth=1
	s_cvt_f32_u32 s2, s20
	s_cvt_f32_u32 s23, s21
	s_sub_nc_u64 s[26:27], 0, s[20:21]
	s_wait_alu 0xfffe
	s_delay_alu instid0(SALU_CYCLE_1) | instskip(SKIP_1) | instid1(SALU_CYCLE_2)
	s_fmamk_f32 s2, s23, 0x4f800000, s2
	s_wait_alu 0xfffe
	v_s_rcp_f32 s2, s2
	s_delay_alu instid0(TRANS32_DEP_1) | instskip(SKIP_1) | instid1(SALU_CYCLE_2)
	s_mul_f32 s2, s2, 0x5f7ffffc
	s_wait_alu 0xfffe
	s_mul_f32 s23, s2, 0x2f800000
	s_wait_alu 0xfffe
	s_delay_alu instid0(SALU_CYCLE_2) | instskip(SKIP_1) | instid1(SALU_CYCLE_2)
	s_trunc_f32 s23, s23
	s_wait_alu 0xfffe
	s_fmamk_f32 s2, s23, 0xcf800000, s2
	s_cvt_u32_f32 s25, s23
	s_wait_alu 0xfffe
	s_delay_alu instid0(SALU_CYCLE_1) | instskip(SKIP_1) | instid1(SALU_CYCLE_2)
	s_cvt_u32_f32 s24, s2
	s_wait_alu 0xfffe
	s_mul_u64 s[28:29], s[26:27], s[24:25]
	s_wait_alu 0xfffe
	s_mul_hi_u32 s31, s24, s29
	s_mul_i32 s30, s24, s29
	s_mul_hi_u32 s2, s24, s28
	s_mul_i32 s33, s25, s28
	s_wait_alu 0xfffe
	s_add_nc_u64 s[30:31], s[2:3], s[30:31]
	s_mul_hi_u32 s23, s25, s28
	s_mul_hi_u32 s34, s25, s29
	s_add_co_u32 s2, s30, s33
	s_wait_alu 0xfffe
	s_add_co_ci_u32 s2, s31, s23
	s_mul_i32 s28, s25, s29
	s_add_co_ci_u32 s29, s34, 0
	s_wait_alu 0xfffe
	s_add_nc_u64 s[28:29], s[2:3], s[28:29]
	s_wait_alu 0xfffe
	v_add_co_u32 v4, s2, s24, s28
	s_delay_alu instid0(VALU_DEP_1) | instskip(SKIP_1) | instid1(VALU_DEP_1)
	s_cmp_lg_u32 s2, 0
	s_add_co_ci_u32 s25, s25, s29
	v_readfirstlane_b32 s24, v4
	s_wait_alu 0xfffe
	s_delay_alu instid0(VALU_DEP_1)
	s_mul_u64 s[26:27], s[26:27], s[24:25]
	s_wait_alu 0xfffe
	s_mul_hi_u32 s29, s24, s27
	s_mul_i32 s28, s24, s27
	s_mul_hi_u32 s2, s24, s26
	s_mul_i32 s30, s25, s26
	s_wait_alu 0xfffe
	s_add_nc_u64 s[28:29], s[2:3], s[28:29]
	s_mul_hi_u32 s23, s25, s26
	s_mul_hi_u32 s24, s25, s27
	s_wait_alu 0xfffe
	s_add_co_u32 s2, s28, s30
	s_add_co_ci_u32 s2, s29, s23
	s_mul_i32 s26, s25, s27
	s_add_co_ci_u32 s27, s24, 0
	s_wait_alu 0xfffe
	s_add_nc_u64 s[26:27], s[2:3], s[26:27]
	s_wait_alu 0xfffe
	v_add_co_u32 v4, s2, v4, s26
	s_delay_alu instid0(VALU_DEP_1) | instskip(SKIP_1) | instid1(VALU_DEP_1)
	s_cmp_lg_u32 s2, 0
	s_add_co_ci_u32 s2, s25, s27
	v_mul_hi_u32 v13, v5, v4
	s_wait_alu 0xfffe
	v_mad_co_u64_u32 v[7:8], null, v5, s2, 0
	v_mad_co_u64_u32 v[9:10], null, v6, v4, 0
	;; [unrolled: 1-line block ×3, first 2 shown]
	s_delay_alu instid0(VALU_DEP_3) | instskip(SKIP_1) | instid1(VALU_DEP_4)
	v_add_co_u32 v4, vcc_lo, v13, v7
	s_wait_alu 0xfffd
	v_add_co_ci_u32_e32 v7, vcc_lo, 0, v8, vcc_lo
	s_delay_alu instid0(VALU_DEP_2) | instskip(SKIP_1) | instid1(VALU_DEP_2)
	v_add_co_u32 v4, vcc_lo, v4, v9
	s_wait_alu 0xfffd
	v_add_co_ci_u32_e32 v4, vcc_lo, v7, v10, vcc_lo
	s_wait_alu 0xfffd
	v_add_co_ci_u32_e32 v7, vcc_lo, 0, v12, vcc_lo
	s_delay_alu instid0(VALU_DEP_2) | instskip(SKIP_1) | instid1(VALU_DEP_2)
	v_add_co_u32 v4, vcc_lo, v4, v11
	s_wait_alu 0xfffd
	v_add_co_ci_u32_e32 v9, vcc_lo, 0, v7, vcc_lo
	s_delay_alu instid0(VALU_DEP_2) | instskip(SKIP_1) | instid1(VALU_DEP_3)
	v_mul_lo_u32 v10, s21, v4
	v_mad_co_u64_u32 v[7:8], null, s20, v4, 0
	v_mul_lo_u32 v11, s20, v9
	s_delay_alu instid0(VALU_DEP_2) | instskip(NEXT) | instid1(VALU_DEP_2)
	v_sub_co_u32 v7, vcc_lo, v5, v7
	v_add3_u32 v8, v8, v11, v10
	s_delay_alu instid0(VALU_DEP_1) | instskip(SKIP_1) | instid1(VALU_DEP_1)
	v_sub_nc_u32_e32 v10, v6, v8
	s_wait_alu 0xfffd
	v_subrev_co_ci_u32_e64 v10, s2, s21, v10, vcc_lo
	v_add_co_u32 v11, s2, v4, 2
	s_wait_alu 0xf1ff
	v_add_co_ci_u32_e64 v12, s2, 0, v9, s2
	v_sub_co_u32 v13, s2, v7, s20
	v_sub_co_ci_u32_e32 v8, vcc_lo, v6, v8, vcc_lo
	s_wait_alu 0xf1ff
	v_subrev_co_ci_u32_e64 v10, s2, 0, v10, s2
	s_delay_alu instid0(VALU_DEP_3) | instskip(NEXT) | instid1(VALU_DEP_3)
	v_cmp_le_u32_e32 vcc_lo, s20, v13
	v_cmp_eq_u32_e64 s2, s21, v8
	s_wait_alu 0xfffd
	v_cndmask_b32_e64 v13, 0, -1, vcc_lo
	v_cmp_le_u32_e32 vcc_lo, s21, v10
	s_wait_alu 0xfffd
	v_cndmask_b32_e64 v14, 0, -1, vcc_lo
	v_cmp_le_u32_e32 vcc_lo, s20, v7
	;; [unrolled: 3-line block ×3, first 2 shown]
	s_wait_alu 0xfffd
	v_cndmask_b32_e64 v15, 0, -1, vcc_lo
	v_cmp_eq_u32_e32 vcc_lo, s21, v10
	s_wait_alu 0xf1ff
	s_delay_alu instid0(VALU_DEP_2)
	v_cndmask_b32_e64 v7, v15, v7, s2
	s_wait_alu 0xfffd
	v_cndmask_b32_e32 v10, v14, v13, vcc_lo
	v_add_co_u32 v13, vcc_lo, v4, 1
	s_wait_alu 0xfffd
	v_add_co_ci_u32_e32 v14, vcc_lo, 0, v9, vcc_lo
	s_delay_alu instid0(VALU_DEP_3) | instskip(SKIP_2) | instid1(VALU_DEP_3)
	v_cmp_ne_u32_e32 vcc_lo, 0, v10
	s_wait_alu 0xfffd
	v_cndmask_b32_e32 v10, v13, v11, vcc_lo
	v_cndmask_b32_e32 v8, v14, v12, vcc_lo
	v_cmp_ne_u32_e32 vcc_lo, 0, v7
	s_wait_alu 0xfffd
	s_delay_alu instid0(VALU_DEP_2)
	v_dual_cndmask_b32 v7, v4, v10 :: v_dual_cndmask_b32 v8, v9, v8
.LBB0_4:                                ;   in Loop: Header=BB0_2 Depth=1
	s_wait_alu 0xfffe
	s_and_not1_saveexec_b32 s2, s22
	s_cbranch_execz .LBB0_6
; %bb.5:                                ;   in Loop: Header=BB0_2 Depth=1
	v_cvt_f32_u32_e32 v4, s20
	s_sub_co_i32 s22, 0, s20
	s_delay_alu instid0(VALU_DEP_1) | instskip(NEXT) | instid1(TRANS32_DEP_1)
	v_rcp_iflag_f32_e32 v4, v4
	v_mul_f32_e32 v4, 0x4f7ffffe, v4
	s_delay_alu instid0(VALU_DEP_1) | instskip(SKIP_1) | instid1(VALU_DEP_1)
	v_cvt_u32_f32_e32 v4, v4
	s_wait_alu 0xfffe
	v_mul_lo_u32 v7, s22, v4
	s_delay_alu instid0(VALU_DEP_1) | instskip(NEXT) | instid1(VALU_DEP_1)
	v_mul_hi_u32 v7, v4, v7
	v_add_nc_u32_e32 v4, v4, v7
	s_delay_alu instid0(VALU_DEP_1) | instskip(NEXT) | instid1(VALU_DEP_1)
	v_mul_hi_u32 v4, v5, v4
	v_mul_lo_u32 v7, v4, s20
	v_add_nc_u32_e32 v8, 1, v4
	s_delay_alu instid0(VALU_DEP_2) | instskip(NEXT) | instid1(VALU_DEP_1)
	v_sub_nc_u32_e32 v7, v5, v7
	v_subrev_nc_u32_e32 v9, s20, v7
	v_cmp_le_u32_e32 vcc_lo, s20, v7
	s_wait_alu 0xfffd
	s_delay_alu instid0(VALU_DEP_2) | instskip(NEXT) | instid1(VALU_DEP_1)
	v_dual_cndmask_b32 v7, v7, v9 :: v_dual_cndmask_b32 v4, v4, v8
	v_cmp_le_u32_e32 vcc_lo, s20, v7
	s_delay_alu instid0(VALU_DEP_2) | instskip(SKIP_1) | instid1(VALU_DEP_1)
	v_add_nc_u32_e32 v8, 1, v4
	s_wait_alu 0xfffd
	v_dual_cndmask_b32 v7, v4, v8 :: v_dual_mov_b32 v8, v3
.LBB0_6:                                ;   in Loop: Header=BB0_2 Depth=1
	s_wait_alu 0xfffe
	s_or_b32 exec_lo, exec_lo, s2
	s_load_b64 s[22:23], s[14:15], 0x0
	s_delay_alu instid0(VALU_DEP_1)
	v_mul_lo_u32 v4, v8, s20
	v_mul_lo_u32 v11, v7, s21
	v_mad_co_u64_u32 v[9:10], null, v7, s20, 0
	s_add_nc_u64 s[16:17], s[16:17], 1
	s_add_nc_u64 s[14:15], s[14:15], 8
	s_wait_alu 0xfffe
	v_cmp_ge_u64_e64 s2, s[16:17], s[6:7]
	s_add_nc_u64 s[18:19], s[18:19], 8
	s_delay_alu instid0(VALU_DEP_2) | instskip(NEXT) | instid1(VALU_DEP_3)
	v_add3_u32 v4, v10, v11, v4
	v_sub_co_u32 v5, vcc_lo, v5, v9
	s_wait_alu 0xfffd
	s_delay_alu instid0(VALU_DEP_2) | instskip(SKIP_3) | instid1(VALU_DEP_2)
	v_sub_co_ci_u32_e32 v4, vcc_lo, v6, v4, vcc_lo
	s_and_b32 vcc_lo, exec_lo, s2
	s_wait_kmcnt 0x0
	v_mul_lo_u32 v6, s23, v5
	v_mul_lo_u32 v4, s22, v4
	v_mad_co_u64_u32 v[1:2], null, s22, v5, v[1:2]
	s_delay_alu instid0(VALU_DEP_1)
	v_add3_u32 v2, v6, v2, v4
	s_wait_alu 0xfffe
	s_cbranch_vccnz .LBB0_9
; %bb.7:                                ;   in Loop: Header=BB0_2 Depth=1
	v_dual_mov_b32 v5, v7 :: v_dual_mov_b32 v6, v8
	s_branch .LBB0_2
.LBB0_8:
	v_dual_mov_b32 v8, v6 :: v_dual_mov_b32 v7, v5
.LBB0_9:
	s_lshl_b64 s[2:3], s[6:7], 3
	v_mul_hi_u32 v3, 0x124924a, v0
	s_wait_alu 0xfffe
	s_add_nc_u64 s[2:3], s[12:13], s[2:3]
	s_load_b64 s[2:3], s[2:3], 0x0
	s_load_b64 s[0:1], s[0:1], 0x20
	s_delay_alu instid0(VALU_DEP_1) | instskip(NEXT) | instid1(VALU_DEP_1)
	v_mul_u32_u24_e32 v3, 0xe0, v3
	v_sub_nc_u32_e32 v38, v0, v3
	s_delay_alu instid0(VALU_DEP_1)
	v_add_nc_u32_e32 v34, 0xe0, v38
	s_wait_kmcnt 0x0
	v_mul_lo_u32 v4, s2, v8
	v_mul_lo_u32 v5, s3, v7
	v_mad_co_u64_u32 v[1:2], null, s2, v7, v[1:2]
	v_cmp_gt_u64_e32 vcc_lo, s[0:1], v[7:8]
	v_cmp_le_u64_e64 s0, s[0:1], v[7:8]
	s_delay_alu instid0(VALU_DEP_3) | instskip(NEXT) | instid1(VALU_DEP_2)
	v_add3_u32 v2, v5, v2, v4
	s_and_saveexec_b32 s1, s0
	s_wait_alu 0xfffe
	s_xor_b32 s0, exec_lo, s1
; %bb.10:
	v_add_nc_u32_e32 v34, 0xe0, v38
; %bb.11:
	s_wait_alu 0xfffe
	s_or_saveexec_b32 s1, s0
	v_lshlrev_b64_e32 v[30:31], 4, v[1:2]
                                        ; implicit-def: $vgpr28_vgpr29
                                        ; implicit-def: $vgpr24_vgpr25
                                        ; implicit-def: $vgpr14_vgpr15
                                        ; implicit-def: $vgpr6_vgpr7
                                        ; implicit-def: $vgpr18_vgpr19
                                        ; implicit-def: $vgpr10_vgpr11
	s_wait_alu 0xfffe
	s_xor_b32 exec_lo, exec_lo, s1
	s_cbranch_execz .LBB0_15
; %bb.12:
	v_add_nc_u32_e32 v12, 0x230, v38
	v_mad_co_u64_u32 v[2:3], null, s10, v38, 0
	v_mad_co_u64_u32 v[6:7], null, s10, v34, 0
	s_delay_alu instid0(VALU_DEP_3) | instskip(SKIP_2) | instid1(VALU_DEP_4)
	v_mad_co_u64_u32 v[4:5], null, s10, v12, 0
	v_add_nc_u32_e32 v14, 0x310, v38
	s_mov_b32 s2, exec_lo
	v_mov_b32_e32 v0, v3
                                        ; implicit-def: $vgpr22_vgpr23
                                        ; implicit-def: $vgpr26_vgpr27
	s_delay_alu instid0(VALU_DEP_2) | instskip(NEXT) | instid1(VALU_DEP_4)
	v_mad_co_u64_u32 v[8:9], null, s10, v14, 0
	v_mov_b32_e32 v1, v5
	s_delay_alu instid0(VALU_DEP_1) | instskip(SKIP_1) | instid1(VALU_DEP_4)
	v_mad_co_u64_u32 v[10:11], null, s11, v38, v[0:1]
	v_mad_co_u64_u32 v[11:12], null, s11, v12, v[1:2]
	v_dual_mov_b32 v0, v7 :: v_dual_mov_b32 v7, v9
	s_delay_alu instid0(VALU_DEP_3) | instskip(NEXT) | instid1(VALU_DEP_3)
	v_mov_b32_e32 v3, v10
	v_mov_b32_e32 v5, v11
	s_delay_alu instid0(VALU_DEP_3) | instskip(NEXT) | instid1(VALU_DEP_3)
	v_mad_co_u64_u32 v[12:13], null, s11, v34, v[0:1]
	v_lshlrev_b64_e32 v[2:3], 4, v[2:3]
	v_add_co_u32 v0, s0, s8, v30
	v_mad_co_u64_u32 v[9:10], null, s11, v14, v[7:8]
	s_wait_alu 0xf1ff
	v_add_co_ci_u32_e64 v1, s0, s9, v31, s0
	v_mov_b32_e32 v7, v12
	v_lshlrev_b64_e32 v[4:5], 4, v[4:5]
	v_add_co_u32 v2, s0, v0, v2
	s_wait_alu 0xf1ff
	v_add_co_ci_u32_e64 v3, s0, v1, v3, s0
	v_lshlrev_b64_e32 v[6:7], 4, v[6:7]
	s_delay_alu instid0(VALU_DEP_4) | instskip(SKIP_3) | instid1(VALU_DEP_4)
	v_add_co_u32 v4, s0, v0, v4
	v_lshlrev_b64_e32 v[8:9], 4, v[8:9]
	s_wait_alu 0xf1ff
	v_add_co_ci_u32_e64 v5, s0, v1, v5, s0
	v_add_co_u32 v6, s0, v0, v6
	s_wait_alu 0xf1ff
	v_add_co_ci_u32_e64 v7, s0, v1, v7, s0
	v_add_co_u32 v12, s0, v0, v8
	s_wait_alu 0xf1ff
	v_add_co_ci_u32_e64 v13, s0, v1, v9, s0
	s_clause 0x3
	global_load_b128 v[8:11], v[2:3], off
	global_load_b128 v[16:19], v[4:5], off
	;; [unrolled: 1-line block ×4, first 2 shown]
	v_cmpx_gt_u32_e32 0x70, v38
	s_cbranch_execz .LBB0_14
; %bb.13:
	v_add_nc_u32_e32 v22, 0x1c0, v38
	s_delay_alu instid0(VALU_DEP_1) | instskip(SKIP_1) | instid1(VALU_DEP_1)
	v_mad_co_u64_u32 v[2:3], null, s10, v22, 0
	s_wait_loadcnt 0x1
	v_mad_co_u64_u32 v[22:23], null, s11, v22, v[3:4]
	s_delay_alu instid0(VALU_DEP_1) | instskip(NEXT) | instid1(VALU_DEP_1)
	v_dual_mov_b32 v3, v22 :: v_dual_add_nc_u32 v24, 0x3f0, v38
	v_mad_co_u64_u32 v[20:21], null, s10, v24, 0
	s_delay_alu instid0(VALU_DEP_2) | instskip(NEXT) | instid1(VALU_DEP_2)
	v_lshlrev_b64_e32 v[2:3], 4, v[2:3]
	v_mad_co_u64_u32 v[23:24], null, s11, v24, v[21:22]
	s_delay_alu instid0(VALU_DEP_2) | instskip(SKIP_1) | instid1(VALU_DEP_3)
	v_add_co_u32 v2, s0, v0, v2
	s_wait_alu 0xf1ff
	v_add_co_ci_u32_e64 v3, s0, v1, v3, s0
	s_delay_alu instid0(VALU_DEP_3) | instskip(NEXT) | instid1(VALU_DEP_1)
	v_mov_b32_e32 v21, v23
	v_lshlrev_b64_e32 v[20:21], 4, v[20:21]
	s_delay_alu instid0(VALU_DEP_1) | instskip(SKIP_1) | instid1(VALU_DEP_2)
	v_add_co_u32 v0, s0, v0, v20
	s_wait_alu 0xf1ff
	v_add_co_ci_u32_e64 v1, s0, v1, v21, s0
	s_clause 0x1
	global_load_b128 v[22:25], v[2:3], off
	global_load_b128 v[26:29], v[0:1], off
.LBB0_14:
	s_wait_alu 0xfffe
	s_or_b32 exec_lo, exec_lo, s2
.LBB0_15:
	s_delay_alu instid0(SALU_CYCLE_1)
	s_or_b32 exec_lo, exec_lo, s1
	s_wait_loadcnt 0x2
	v_add_f64_e64 v[41:42], v[8:9], -v[16:17]
	s_wait_loadcnt 0x0
	v_add_f64_e64 v[2:3], v[22:23], -v[26:27]
	v_add_f64_e64 v[45:46], v[4:5], -v[12:13]
	v_add_nc_u32_e32 v35, 0x1c0, v38
	v_lshl_add_u32 v26, v38, 4, 0
	v_lshl_add_u32 v16, v34, 4, 0
	v_cmp_gt_u32_e64 s0, 0x70, v38
	s_delay_alu instid0(VALU_DEP_4)
	v_lshl_add_u32 v17, v35, 4, 0
	v_fma_f64 v[39:40], v[8:9], 2.0, -v[41:42]
	v_fma_f64 v[0:1], v[22:23], 2.0, -v[2:3]
	;; [unrolled: 1-line block ×3, first 2 shown]
	ds_store_b128 v26, v[39:42]
	ds_store_b128 v16, v[43:46]
	s_and_saveexec_b32 s1, s0
	s_cbranch_execz .LBB0_17
; %bb.16:
	ds_store_b128 v17, v[0:3]
.LBB0_17:
	s_wait_alu 0xfffe
	s_or_b32 exec_lo, exec_lo, s1
	v_lshlrev_b32_e32 v8, 3, v38
	v_lshlrev_b32_e32 v27, 3, v34
	global_wb scope:SCOPE_SE
	s_wait_dscnt 0x0
	s_barrier_signal -1
	s_barrier_wait -1
	v_sub_nc_u32_e32 v4, v26, v8
	v_sub_nc_u32_e32 v9, v16, v27
	global_inv scope:SCOPE_SE
	v_sub_nc_u32_e32 v8, 0, v8
	v_add_nc_u32_e32 v5, 0x1100, v4
	ds_load_2addr_b64 v[20:23], v5 offset0:16 offset1:240
	ds_load_b64 v[4:5], v4
	ds_load_b64 v[12:13], v9
	v_add_nc_u32_e32 v39, v26, v8
	s_and_saveexec_b32 s1, s0
	s_cbranch_execz .LBB0_19
; %bb.18:
	ds_load_b64 v[0:1], v39 offset:3584
	ds_load_b64 v[2:3], v39 offset:8064
.LBB0_19:
	s_wait_alu 0xfffe
	s_or_b32 exec_lo, exec_lo, s1
	v_add_f64_e64 v[42:43], v[10:11], -v[18:19]
	v_add_f64_e64 v[46:47], v[6:7], -v[14:15]
	;; [unrolled: 1-line block ×3, first 2 shown]
	global_wb scope:SCOPE_SE
	s_wait_dscnt 0x0
	s_barrier_signal -1
	s_barrier_wait -1
	global_inv scope:SCOPE_SE
	v_fma_f64 v[40:41], v[10:11], 2.0, -v[42:43]
	v_fma_f64 v[44:45], v[6:7], 2.0, -v[46:47]
	;; [unrolled: 1-line block ×3, first 2 shown]
	v_sub_nc_u32_e32 v10, 0, v27
	ds_store_b128 v26, v[40:43]
	ds_store_b128 v16, v[44:47]
	s_and_saveexec_b32 s1, s0
	s_cbranch_execz .LBB0_21
; %bb.20:
	ds_store_b128 v17, v[6:9]
.LBB0_21:
	s_wait_alu 0xfffe
	s_or_b32 exec_lo, exec_lo, s1
	v_add_nc_u32_e32 v11, 0x1100, v39
	v_add_nc_u32_e32 v40, v16, v10
	global_wb scope:SCOPE_SE
	s_wait_dscnt 0x0
	s_barrier_signal -1
	s_barrier_wait -1
	global_inv scope:SCOPE_SE
	ds_load_2addr_b64 v[14:17], v11 offset0:16 offset1:240
	ds_load_b64 v[28:29], v39
	ds_load_b64 v[32:33], v40
	v_lshlrev_b32_e32 v43, 1, v38
	v_lshlrev_b32_e32 v42, 1, v34
	s_and_saveexec_b32 s1, s0
	s_cbranch_execz .LBB0_23
; %bb.22:
	ds_load_b64 v[6:7], v39 offset:3584
	ds_load_b64 v[8:9], v39 offset:8064
.LBB0_23:
	s_wait_alu 0xfffe
	s_or_b32 exec_lo, exec_lo, s1
	v_and_b32_e32 v44, 1, v38
	v_lshlrev_b32_e32 v41, 1, v35
	s_delay_alu instid0(VALU_DEP_2)
	v_lshlrev_b32_e32 v10, 4, v44
	global_load_b128 v[24:27], v10, s[4:5]
	global_wb scope:SCOPE_SE
	s_wait_loadcnt_dscnt 0x0
	s_barrier_signal -1
	s_barrier_wait -1
	global_inv scope:SCOPE_SE
	v_mul_f64_e32 v[10:11], v[14:15], v[26:27]
	v_mul_f64_e32 v[18:19], v[16:17], v[26:27]
	;; [unrolled: 1-line block ×3, first 2 shown]
	s_delay_alu instid0(VALU_DEP_3) | instskip(NEXT) | instid1(VALU_DEP_3)
	v_fma_f64 v[10:11], v[20:21], v[24:25], -v[10:11]
	v_fma_f64 v[18:19], v[22:23], v[24:25], -v[18:19]
	s_delay_alu instid0(VALU_DEP_3) | instskip(NEXT) | instid1(VALU_DEP_3)
	v_fma_f64 v[36:37], v[2:3], v[24:25], -v[36:37]
	v_add_f64_e64 v[10:11], v[4:5], -v[10:11]
	s_delay_alu instid0(VALU_DEP_3) | instskip(NEXT) | instid1(VALU_DEP_3)
	v_add_f64_e64 v[45:46], v[12:13], -v[18:19]
	v_add_f64_e64 v[18:19], v[0:1], -v[36:37]
	s_delay_alu instid0(VALU_DEP_3) | instskip(NEXT) | instid1(VALU_DEP_3)
	v_fma_f64 v[36:37], v[4:5], 2.0, -v[10:11]
	v_fma_f64 v[12:13], v[12:13], 2.0, -v[45:46]
	s_delay_alu instid0(VALU_DEP_3) | instskip(SKIP_2) | instid1(VALU_DEP_2)
	v_fma_f64 v[0:1], v[0:1], 2.0, -v[18:19]
	v_and_or_b32 v4, 0x1fc, v43, v44
	v_and_or_b32 v5, 0x3fc, v42, v44
	v_lshl_add_u32 v4, v4, 3, 0
	s_delay_alu instid0(VALU_DEP_2)
	v_lshl_add_u32 v5, v5, 3, 0
	ds_store_2addr_b64 v4, v[36:37], v[10:11] offset1:2
	ds_store_2addr_b64 v5, v[12:13], v[45:46] offset1:2
	s_and_saveexec_b32 s1, s0
	s_cbranch_execz .LBB0_25
; %bb.24:
	v_and_or_b32 v10, 0x7fc, v41, v44
	s_delay_alu instid0(VALU_DEP_1)
	v_lshl_add_u32 v10, v10, 3, 0
	ds_store_2addr_b64 v10, v[0:1], v[18:19] offset1:2
.LBB0_25:
	s_wait_alu 0xfffe
	s_or_b32 exec_lo, exec_lo, s1
	v_add_nc_u32_e32 v10, 0x1100, v39
	global_wb scope:SCOPE_SE
	s_wait_dscnt 0x0
	s_barrier_signal -1
	s_barrier_wait -1
	global_inv scope:SCOPE_SE
	ds_load_2addr_b64 v[10:13], v10 offset0:16 offset1:240
	ds_load_b64 v[34:35], v39
	ds_load_b64 v[36:37], v40
	s_and_saveexec_b32 s1, s0
	s_cbranch_execz .LBB0_27
; %bb.26:
	ds_load_b64 v[0:1], v39 offset:3584
	ds_load_b64 v[18:19], v39 offset:8064
.LBB0_27:
	s_wait_alu 0xfffe
	s_or_b32 exec_lo, exec_lo, s1
	v_mul_f64_e32 v[20:21], v[20:21], v[26:27]
	v_mul_f64_e32 v[2:3], v[2:3], v[26:27]
	;; [unrolled: 1-line block ×3, first 2 shown]
	global_wb scope:SCOPE_SE
	s_wait_dscnt 0x0
	s_barrier_signal -1
	s_barrier_wait -1
	global_inv scope:SCOPE_SE
	v_fma_f64 v[14:15], v[14:15], v[24:25], v[20:21]
	v_fma_f64 v[2:3], v[8:9], v[24:25], v[2:3]
	;; [unrolled: 1-line block ×3, first 2 shown]
	s_delay_alu instid0(VALU_DEP_3) | instskip(NEXT) | instid1(VALU_DEP_3)
	v_add_f64_e64 v[14:15], v[28:29], -v[14:15]
	v_add_f64_e64 v[24:25], v[6:7], -v[2:3]
	s_delay_alu instid0(VALU_DEP_3) | instskip(NEXT) | instid1(VALU_DEP_3)
	v_add_f64_e64 v[16:17], v[32:33], -v[16:17]
	v_fma_f64 v[2:3], v[28:29], 2.0, -v[14:15]
	s_delay_alu instid0(VALU_DEP_3) | instskip(NEXT) | instid1(VALU_DEP_3)
	v_fma_f64 v[8:9], v[6:7], 2.0, -v[24:25]
	v_fma_f64 v[20:21], v[32:33], 2.0, -v[16:17]
	ds_store_2addr_b64 v4, v[2:3], v[14:15] offset1:2
	ds_store_2addr_b64 v5, v[20:21], v[16:17] offset1:2
	s_and_saveexec_b32 s1, s0
	s_cbranch_execz .LBB0_29
; %bb.28:
	v_and_or_b32 v2, 0x7fc, v41, v44
	s_delay_alu instid0(VALU_DEP_1)
	v_lshl_add_u32 v2, v2, 3, 0
	ds_store_2addr_b64 v2, v[8:9], v[24:25] offset1:2
.LBB0_29:
	s_wait_alu 0xfffe
	s_or_b32 exec_lo, exec_lo, s1
	v_add_nc_u32_e32 v2, 0x1100, v39
	global_wb scope:SCOPE_SE
	s_wait_dscnt 0x0
	s_barrier_signal -1
	s_barrier_wait -1
	global_inv scope:SCOPE_SE
	ds_load_2addr_b64 v[4:7], v2 offset0:16 offset1:240
	ds_load_b64 v[28:29], v39
	ds_load_b64 v[32:33], v40
	s_and_saveexec_b32 s1, s0
	s_cbranch_execz .LBB0_31
; %bb.30:
	ds_load_b64 v[8:9], v39 offset:3584
	ds_load_b64 v[24:25], v39 offset:8064
.LBB0_31:
	s_wait_alu 0xfffe
	s_or_b32 exec_lo, exec_lo, s1
	v_and_b32_e32 v44, 3, v38
	s_delay_alu instid0(VALU_DEP_1)
	v_lshlrev_b32_e32 v2, 4, v44
	global_load_b128 v[14:17], v2, s[4:5] offset:32
	global_wb scope:SCOPE_SE
	s_wait_loadcnt_dscnt 0x0
	s_barrier_signal -1
	s_barrier_wait -1
	global_inv scope:SCOPE_SE
	v_mul_f64_e32 v[2:3], v[4:5], v[16:17]
	v_mul_f64_e32 v[20:21], v[6:7], v[16:17]
	;; [unrolled: 1-line block ×3, first 2 shown]
	s_delay_alu instid0(VALU_DEP_3) | instskip(NEXT) | instid1(VALU_DEP_3)
	v_fma_f64 v[2:3], v[10:11], v[14:15], -v[2:3]
	v_fma_f64 v[20:21], v[12:13], v[14:15], -v[20:21]
	s_delay_alu instid0(VALU_DEP_3) | instskip(NEXT) | instid1(VALU_DEP_3)
	v_fma_f64 v[22:23], v[18:19], v[14:15], -v[22:23]
	v_add_f64_e64 v[2:3], v[34:35], -v[2:3]
	s_delay_alu instid0(VALU_DEP_3) | instskip(NEXT) | instid1(VALU_DEP_3)
	v_add_f64_e64 v[26:27], v[36:37], -v[20:21]
	v_add_f64_e64 v[20:21], v[0:1], -v[22:23]
	s_delay_alu instid0(VALU_DEP_3) | instskip(NEXT) | instid1(VALU_DEP_3)
	v_fma_f64 v[34:35], v[34:35], 2.0, -v[2:3]
	v_fma_f64 v[36:37], v[36:37], 2.0, -v[26:27]
	s_delay_alu instid0(VALU_DEP_3) | instskip(SKIP_2) | instid1(VALU_DEP_2)
	v_fma_f64 v[22:23], v[0:1], 2.0, -v[20:21]
	v_and_or_b32 v0, 0x1f8, v43, v44
	v_and_or_b32 v1, 0x3f8, v42, v44
	v_lshl_add_u32 v45, v0, 3, 0
	s_delay_alu instid0(VALU_DEP_2)
	v_lshl_add_u32 v46, v1, 3, 0
	ds_store_2addr_b64 v45, v[34:35], v[2:3] offset1:4
	ds_store_2addr_b64 v46, v[36:37], v[26:27] offset1:4
	s_and_saveexec_b32 s1, s0
	s_cbranch_execz .LBB0_33
; %bb.32:
	v_and_or_b32 v0, 0x7f8, v41, v44
	s_delay_alu instid0(VALU_DEP_1)
	v_lshl_add_u32 v0, v0, 3, 0
	ds_store_2addr_b64 v0, v[22:23], v[20:21] offset1:4
.LBB0_33:
	s_wait_alu 0xfffe
	s_or_b32 exec_lo, exec_lo, s1
	v_add_nc_u32_e32 v0, 0x1100, v39
	global_wb scope:SCOPE_SE
	s_wait_dscnt 0x0
	s_barrier_signal -1
	s_barrier_wait -1
	global_inv scope:SCOPE_SE
	ds_load_2addr_b64 v[0:3], v0 offset0:16 offset1:240
	ds_load_b64 v[34:35], v39
	ds_load_b64 v[36:37], v40
	s_and_saveexec_b32 s1, s0
	s_cbranch_execz .LBB0_35
; %bb.34:
	ds_load_b64 v[22:23], v39 offset:3584
	ds_load_b64 v[20:21], v39 offset:8064
.LBB0_35:
	s_wait_alu 0xfffe
	s_or_b32 exec_lo, exec_lo, s1
	v_mul_f64_e32 v[10:11], v[10:11], v[16:17]
	v_mul_f64_e32 v[12:13], v[12:13], v[16:17]
	;; [unrolled: 1-line block ×3, first 2 shown]
	global_wb scope:SCOPE_SE
	s_wait_dscnt 0x0
	s_barrier_signal -1
	s_barrier_wait -1
	global_inv scope:SCOPE_SE
	v_fma_f64 v[4:5], v[4:5], v[14:15], v[10:11]
	v_fma_f64 v[6:7], v[6:7], v[14:15], v[12:13]
	;; [unrolled: 1-line block ×3, first 2 shown]
	s_delay_alu instid0(VALU_DEP_3) | instskip(NEXT) | instid1(VALU_DEP_3)
	v_add_f64_e64 v[4:5], v[28:29], -v[4:5]
	v_add_f64_e64 v[6:7], v[32:33], -v[6:7]
	s_delay_alu instid0(VALU_DEP_3) | instskip(NEXT) | instid1(VALU_DEP_3)
	v_add_f64_e64 v[26:27], v[8:9], -v[10:11]
	v_fma_f64 v[10:11], v[28:29], 2.0, -v[4:5]
	s_delay_alu instid0(VALU_DEP_3) | instskip(NEXT) | instid1(VALU_DEP_3)
	v_fma_f64 v[12:13], v[32:33], 2.0, -v[6:7]
	v_fma_f64 v[24:25], v[8:9], 2.0, -v[26:27]
	ds_store_2addr_b64 v45, v[10:11], v[4:5] offset1:4
	ds_store_2addr_b64 v46, v[12:13], v[6:7] offset1:4
	s_and_saveexec_b32 s1, s0
	s_cbranch_execz .LBB0_37
; %bb.36:
	v_and_or_b32 v4, 0x7f8, v41, v44
	s_delay_alu instid0(VALU_DEP_1)
	v_lshl_add_u32 v4, v4, 3, 0
	ds_store_2addr_b64 v4, v[24:25], v[26:27] offset1:4
.LBB0_37:
	s_wait_alu 0xfffe
	s_or_b32 exec_lo, exec_lo, s1
	v_add_nc_u32_e32 v4, 0x1100, v39
	global_wb scope:SCOPE_SE
	s_wait_dscnt 0x0
	s_barrier_signal -1
	s_barrier_wait -1
	global_inv scope:SCOPE_SE
	ds_load_2addr_b64 v[8:11], v4 offset0:16 offset1:240
	ds_load_b64 v[28:29], v39
	ds_load_b64 v[32:33], v40
	v_lshl_add_u32 v44, v38, 3, 0
	s_and_saveexec_b32 s1, s0
	s_cbranch_execz .LBB0_39
; %bb.38:
	ds_load_b64 v[24:25], v44 offset:3584
	ds_load_b64 v[26:27], v39 offset:8064
.LBB0_39:
	s_wait_alu 0xfffe
	s_or_b32 exec_lo, exec_lo, s1
	v_and_b32_e32 v45, 7, v38
	s_delay_alu instid0(VALU_DEP_1)
	v_lshlrev_b32_e32 v4, 4, v45
	global_load_b128 v[12:15], v4, s[4:5] offset:96
	global_wb scope:SCOPE_SE
	s_wait_loadcnt_dscnt 0x0
	s_barrier_signal -1
	s_barrier_wait -1
	global_inv scope:SCOPE_SE
	v_mul_f64_e32 v[4:5], v[8:9], v[14:15]
	v_mul_f64_e32 v[16:17], v[26:27], v[14:15]
	;; [unrolled: 1-line block ×3, first 2 shown]
	s_delay_alu instid0(VALU_DEP_3) | instskip(NEXT) | instid1(VALU_DEP_3)
	v_fma_f64 v[4:5], v[0:1], v[12:13], -v[4:5]
	v_fma_f64 v[16:17], v[20:21], v[12:13], -v[16:17]
	s_delay_alu instid0(VALU_DEP_3) | instskip(NEXT) | instid1(VALU_DEP_3)
	v_fma_f64 v[6:7], v[2:3], v[12:13], -v[6:7]
	v_add_f64_e64 v[4:5], v[34:35], -v[4:5]
	s_delay_alu instid0(VALU_DEP_3) | instskip(NEXT) | instid1(VALU_DEP_3)
	v_add_f64_e64 v[16:17], v[22:23], -v[16:17]
	v_add_f64_e64 v[6:7], v[36:37], -v[6:7]
	s_delay_alu instid0(VALU_DEP_3) | instskip(NEXT) | instid1(VALU_DEP_3)
	v_fma_f64 v[34:35], v[34:35], 2.0, -v[4:5]
	v_fma_f64 v[18:19], v[22:23], 2.0, -v[16:17]
	s_delay_alu instid0(VALU_DEP_3) | instskip(SKIP_2) | instid1(VALU_DEP_2)
	v_fma_f64 v[46:47], v[36:37], 2.0, -v[6:7]
	v_and_or_b32 v22, 0x1f0, v43, v45
	v_and_or_b32 v23, 0x3f0, v42, v45
	v_lshl_add_u32 v36, v22, 3, 0
	s_delay_alu instid0(VALU_DEP_2)
	v_lshl_add_u32 v37, v23, 3, 0
	ds_store_2addr_b64 v36, v[34:35], v[4:5] offset1:8
	ds_store_2addr_b64 v37, v[46:47], v[6:7] offset1:8
	s_and_saveexec_b32 s1, s0
	s_cbranch_execz .LBB0_41
; %bb.40:
	v_and_or_b32 v4, 0x7f0, v41, v45
	s_delay_alu instid0(VALU_DEP_1)
	v_lshl_add_u32 v4, v4, 3, 0
	ds_store_2addr_b64 v4, v[18:19], v[16:17] offset1:8
.LBB0_41:
	s_wait_alu 0xfffe
	s_or_b32 exec_lo, exec_lo, s1
	v_add_nc_u32_e32 v4, 0x1100, v39
	global_wb scope:SCOPE_SE
	s_wait_dscnt 0x0
	s_barrier_signal -1
	s_barrier_wait -1
	global_inv scope:SCOPE_SE
	ds_load_2addr_b64 v[4:7], v4 offset0:16 offset1:240
	ds_load_b64 v[22:23], v39
	ds_load_b64 v[34:35], v40
	s_and_saveexec_b32 s1, s0
	s_cbranch_execz .LBB0_43
; %bb.42:
	ds_load_b64 v[18:19], v44 offset:3584
	ds_load_b64 v[16:17], v39 offset:8064
.LBB0_43:
	s_wait_alu 0xfffe
	s_or_b32 exec_lo, exec_lo, s1
	v_mul_f64_e32 v[0:1], v[0:1], v[14:15]
	v_mul_f64_e32 v[2:3], v[2:3], v[14:15]
	;; [unrolled: 1-line block ×3, first 2 shown]
	global_wb scope:SCOPE_SE
	s_wait_dscnt 0x0
	s_barrier_signal -1
	s_barrier_wait -1
	global_inv scope:SCOPE_SE
	v_fma_f64 v[0:1], v[8:9], v[12:13], v[0:1]
	v_fma_f64 v[2:3], v[10:11], v[12:13], v[2:3]
	;; [unrolled: 1-line block ×3, first 2 shown]
	s_delay_alu instid0(VALU_DEP_3) | instskip(NEXT) | instid1(VALU_DEP_3)
	v_add_f64_e64 v[10:11], v[28:29], -v[0:1]
	v_add_f64_e64 v[2:3], v[32:33], -v[2:3]
	s_delay_alu instid0(VALU_DEP_3) | instskip(NEXT) | instid1(VALU_DEP_3)
	v_add_f64_e64 v[0:1], v[24:25], -v[8:9]
	v_fma_f64 v[8:9], v[28:29], 2.0, -v[10:11]
	s_delay_alu instid0(VALU_DEP_3) | instskip(NEXT) | instid1(VALU_DEP_3)
	v_fma_f64 v[12:13], v[32:33], 2.0, -v[2:3]
	v_fma_f64 v[20:21], v[24:25], 2.0, -v[0:1]
	ds_store_2addr_b64 v36, v[8:9], v[10:11] offset1:8
	ds_store_2addr_b64 v37, v[12:13], v[2:3] offset1:8
	s_and_saveexec_b32 s1, s0
	s_cbranch_execz .LBB0_45
; %bb.44:
	v_and_or_b32 v2, 0x7f0, v41, v45
	s_delay_alu instid0(VALU_DEP_1)
	v_lshl_add_u32 v2, v2, 3, 0
	ds_store_2addr_b64 v2, v[20:21], v[0:1] offset1:8
.LBB0_45:
	s_wait_alu 0xfffe
	s_or_b32 exec_lo, exec_lo, s1
	v_add_nc_u32_e32 v2, 0x1100, v39
	global_wb scope:SCOPE_SE
	s_wait_dscnt 0x0
	s_barrier_signal -1
	s_barrier_wait -1
	global_inv scope:SCOPE_SE
	ds_load_2addr_b64 v[8:11], v2 offset0:16 offset1:240
	ds_load_b64 v[24:25], v39
	ds_load_b64 v[26:27], v40
	s_and_saveexec_b32 s1, s0
	s_cbranch_execz .LBB0_47
; %bb.46:
	ds_load_b64 v[20:21], v44 offset:3584
	ds_load_b64 v[0:1], v39 offset:8064
.LBB0_47:
	s_wait_alu 0xfffe
	s_or_b32 exec_lo, exec_lo, s1
	v_and_b32_e32 v28, 15, v38
	s_delay_alu instid0(VALU_DEP_1)
	v_lshlrev_b32_e32 v2, 4, v28
	global_load_b128 v[12:15], v2, s[4:5] offset:224
	global_wb scope:SCOPE_SE
	s_wait_loadcnt_dscnt 0x0
	s_barrier_signal -1
	s_barrier_wait -1
	global_inv scope:SCOPE_SE
	v_mul_f64_e32 v[2:3], v[8:9], v[14:15]
	v_mul_f64_e32 v[32:33], v[10:11], v[14:15]
	;; [unrolled: 1-line block ×3, first 2 shown]
	s_delay_alu instid0(VALU_DEP_3) | instskip(NEXT) | instid1(VALU_DEP_3)
	v_fma_f64 v[2:3], v[4:5], v[12:13], -v[2:3]
	v_fma_f64 v[32:33], v[6:7], v[12:13], -v[32:33]
	s_delay_alu instid0(VALU_DEP_2) | instskip(NEXT) | instid1(VALU_DEP_4)
	v_add_f64_e64 v[45:46], v[22:23], -v[2:3]
	v_fma_f64 v[2:3], v[16:17], v[12:13], -v[36:37]
	s_delay_alu instid0(VALU_DEP_3) | instskip(NEXT) | instid1(VALU_DEP_3)
	v_add_f64_e64 v[32:33], v[34:35], -v[32:33]
	v_fma_f64 v[36:37], v[22:23], 2.0, -v[45:46]
	s_delay_alu instid0(VALU_DEP_3) | instskip(NEXT) | instid1(VALU_DEP_3)
	v_add_f64_e64 v[2:3], v[18:19], -v[2:3]
	v_fma_f64 v[34:35], v[34:35], 2.0, -v[32:33]
	v_and_or_b32 v22, 0x1e0, v43, v28
	v_and_or_b32 v23, 0x3e0, v42, v28
	s_delay_alu instid0(VALU_DEP_2) | instskip(NEXT) | instid1(VALU_DEP_2)
	v_lshl_add_u32 v22, v22, 3, 0
	v_lshl_add_u32 v23, v23, 3, 0
	ds_store_2addr_b64 v22, v[36:37], v[45:46] offset1:16
	ds_store_2addr_b64 v23, v[34:35], v[32:33] offset1:16
	s_and_saveexec_b32 s1, s0
	s_cbranch_execz .LBB0_49
; %bb.48:
	v_fma_f64 v[18:19], v[18:19], 2.0, -v[2:3]
	v_and_or_b32 v29, 0x7e0, v41, v28
	s_delay_alu instid0(VALU_DEP_1)
	v_lshl_add_u32 v29, v29, 3, 0
	ds_store_2addr_b64 v29, v[18:19], v[2:3] offset1:16
.LBB0_49:
	s_wait_alu 0xfffe
	s_or_b32 exec_lo, exec_lo, s1
	v_mul_f64_e32 v[4:5], v[4:5], v[14:15]
	v_mul_f64_e32 v[6:7], v[6:7], v[14:15]
	global_wb scope:SCOPE_SE
	s_wait_dscnt 0x0
	s_barrier_signal -1
	s_barrier_wait -1
	global_inv scope:SCOPE_SE
	v_fma_f64 v[4:5], v[8:9], v[12:13], v[4:5]
	v_mul_f64_e32 v[8:9], v[16:17], v[14:15]
	v_fma_f64 v[6:7], v[10:11], v[12:13], v[6:7]
	v_add_nc_u32_e32 v14, 0x1500, v39
	s_delay_alu instid0(VALU_DEP_4) | instskip(NEXT) | instid1(VALU_DEP_4)
	v_add_f64_e64 v[15:16], v[24:25], -v[4:5]
	v_fma_f64 v[0:1], v[0:1], v[12:13], v[8:9]
	s_delay_alu instid0(VALU_DEP_4) | instskip(NEXT) | instid1(VALU_DEP_3)
	v_add_f64_e64 v[17:18], v[26:27], -v[6:7]
	v_fma_f64 v[24:25], v[24:25], 2.0, -v[15:16]
	s_delay_alu instid0(VALU_DEP_3) | instskip(NEXT) | instid1(VALU_DEP_3)
	v_add_f64_e64 v[6:7], v[20:21], -v[0:1]
	v_fma_f64 v[26:27], v[26:27], 2.0, -v[17:18]
	ds_load_b64 v[4:5], v44 offset:3584
	ds_load_b64 v[0:1], v39
	ds_load_b64 v[12:13], v40
	ds_load_2addr_b64 v[8:11], v14 offset1:224
	global_wb scope:SCOPE_SE
	s_wait_dscnt 0x0
	s_barrier_signal -1
	s_barrier_wait -1
	global_inv scope:SCOPE_SE
	ds_store_2addr_b64 v22, v[24:25], v[15:16] offset1:16
	ds_store_2addr_b64 v23, v[26:27], v[17:18] offset1:16
	s_and_saveexec_b32 s1, s0
	s_cbranch_execz .LBB0_51
; %bb.50:
	v_fma_f64 v[15:16], v[20:21], 2.0, -v[6:7]
	v_and_or_b32 v17, 0x7e0, v41, v28
	s_delay_alu instid0(VALU_DEP_1)
	v_lshl_add_u32 v17, v17, 3, 0
	ds_store_2addr_b64 v17, v[15:16], v[6:7] offset1:16
.LBB0_51:
	s_wait_alu 0xfffe
	s_or_b32 exec_lo, exec_lo, s1
	v_and_b32_e32 v55, 31, v38
	global_wb scope:SCOPE_SE
	s_wait_dscnt 0x0
	s_barrier_signal -1
	s_barrier_wait -1
	global_inv scope:SCOPE_SE
	v_lshlrev_b32_e32 v19, 6, v55
	s_mov_b32 s2, 0x134454ff
	s_mov_b32 s3, 0x3fee6f0e
	;; [unrolled: 1-line block ×3, first 2 shown]
	s_wait_alu 0xfffe
	s_mov_b32 s6, s2
	s_clause 0x3
	global_load_b128 v[15:18], v19, s[4:5] offset:480
	global_load_b128 v[24:27], v19, s[4:5] offset:496
	;; [unrolled: 1-line block ×4, first 2 shown]
	ds_load_b64 v[19:20], v40
	ds_load_b64 v[49:50], v44 offset:3584
	ds_load_2addr_b64 v[40:43], v14 offset1:224
	s_mov_b32 s12, 0x4755a5e
	s_mov_b32 s13, 0x3fe2cf23
	;; [unrolled: 1-line block ×6, first 2 shown]
	v_cmp_gt_u32_e64 s0, 0xa0, v38
	s_wait_loadcnt_dscnt 0x302
	v_mul_f64_e32 v[21:22], v[19:20], v[17:18]
	s_wait_loadcnt_dscnt 0x201
	v_mul_f64_e32 v[28:29], v[49:50], v[26:27]
	;; [unrolled: 2-line block ×3, first 2 shown]
	s_wait_loadcnt 0x0
	v_mul_f64_e32 v[51:52], v[42:43], v[47:48]
	v_mul_f64_e32 v[17:18], v[12:13], v[17:18]
	;; [unrolled: 1-line block ×5, first 2 shown]
	v_fma_f64 v[22:23], v[12:13], v[15:16], -v[21:22]
	v_fma_f64 v[26:27], v[4:5], v[24:25], -v[28:29]
	;; [unrolled: 1-line block ×4, first 2 shown]
	v_fma_f64 v[20:21], v[19:20], v[15:16], v[17:18]
	v_fma_f64 v[18:19], v[49:50], v[24:25], v[53:54]
	;; [unrolled: 1-line block ×4, first 2 shown]
	v_add_f64_e32 v[12:13], v[0:1], v[22:23]
	v_add_f64_e64 v[36:37], v[26:27], -v[22:23]
	v_add_f64_e32 v[8:9], v[26:27], v[28:29]
	v_add_f64_e32 v[10:11], v[22:23], v[32:33]
	v_add_f64_e64 v[34:35], v[32:33], -v[28:29]
	v_add_f64_e64 v[40:41], v[28:29], -v[32:33]
	;; [unrolled: 1-line block ×4, first 2 shown]
	v_add_f64_e32 v[12:13], v[12:13], v[26:27]
	v_fma_f64 v[8:9], v[8:9], -0.5, v[0:1]
	v_fma_f64 v[0:1], v[10:11], -0.5, v[0:1]
	v_add_f64_e64 v[10:11], v[22:23], -v[26:27]
	v_add_f64_e32 v[36:37], v[36:37], v[40:41]
	s_delay_alu instid0(VALU_DEP_4) | instskip(SKIP_1) | instid1(VALU_DEP_4)
	v_fma_f64 v[42:43], v[14:15], s[2:3], v[8:9]
	s_wait_alu 0xfffe
	v_fma_f64 v[44:45], v[24:25], s[6:7], v[0:1]
	v_fma_f64 v[0:1], v[24:25], s[2:3], v[0:1]
	;; [unrolled: 1-line block ×3, first 2 shown]
	v_add_f64_e32 v[34:35], v[10:11], v[34:35]
	v_add_f64_e32 v[10:11], v[12:13], v[28:29]
	v_fma_f64 v[12:13], v[24:25], s[12:13], v[42:43]
	v_fma_f64 v[40:41], v[14:15], s[12:13], v[44:45]
	;; [unrolled: 1-line block ×4, first 2 shown]
	v_add_f64_e32 v[8:9], v[10:11], v[32:33]
	v_fma_f64 v[10:11], v[34:35], s[16:17], v[12:13]
	v_fma_f64 v[12:13], v[36:37], s[16:17], v[40:41]
	;; [unrolled: 1-line block ×4, first 2 shown]
	v_lshrrev_b32_e32 v24, 5, v38
	ds_load_b64 v[34:35], v39
	global_wb scope:SCOPE_SE
	s_wait_dscnt 0x0
	s_barrier_signal -1
	s_barrier_wait -1
	v_mul_u32_u24_e32 v24, 0xa0, v24
	global_inv scope:SCOPE_SE
	v_or_b32_e32 v24, v24, v55
	s_delay_alu instid0(VALU_DEP_1)
	v_lshl_add_u32 v36, v24, 3, 0
                                        ; implicit-def: $vgpr24_vgpr25
	ds_store_2addr_b64 v36, v[8:9], v[10:11] offset1:32
	ds_store_2addr_b64 v36, v[12:13], v[14:15] offset0:64 offset1:96
	ds_store_b64 v36, v[0:1] offset:1024
	global_wb scope:SCOPE_SE
	s_wait_dscnt 0x0
	s_barrier_signal -1
	s_barrier_wait -1
	global_inv scope:SCOPE_SE
	s_and_saveexec_b32 s1, s0
	s_cbranch_execz .LBB0_53
; %bb.52:
	v_add_nc_u32_e32 v0, 0x800, v39
	v_add_nc_u32_e32 v1, 0x1400, v39
	ds_load_2addr_b64 v[8:11], v39 offset1:160
	ds_load_2addr_b64 v[12:15], v0 offset0:64 offset1:224
	ds_load_2addr_b64 v[0:3], v1 offset1:160
	ds_load_b64 v[24:25], v39 offset:7680
.LBB0_53:
	s_wait_alu 0xfffe
	s_or_b32 exec_lo, exec_lo, s1
	v_add_f64_e32 v[40:41], v[18:19], v[16:17]
	v_add_f64_e32 v[42:43], v[20:21], v[4:5]
	;; [unrolled: 1-line block ×3, first 2 shown]
	v_add_f64_e64 v[22:23], v[22:23], -v[32:33]
	v_add_f64_e64 v[26:27], v[26:27], -v[28:29]
	global_wb scope:SCOPE_SE
	s_wait_dscnt 0x0
	s_barrier_signal -1
	s_barrier_wait -1
	global_inv scope:SCOPE_SE
	v_fma_f64 v[28:29], v[40:41], -0.5, v[34:35]
	v_fma_f64 v[32:33], v[42:43], -0.5, v[34:35]
	v_add_f64_e64 v[34:35], v[20:21], -v[18:19]
	v_add_f64_e64 v[40:41], v[4:5], -v[16:17]
	;; [unrolled: 1-line block ×4, first 2 shown]
	v_add_f64_e32 v[18:19], v[44:45], v[18:19]
	v_fma_f64 v[44:45], v[22:23], s[6:7], v[28:29]
	v_fma_f64 v[46:47], v[26:27], s[2:3], v[32:33]
	;; [unrolled: 1-line block ×4, first 2 shown]
	v_add_f64_e32 v[34:35], v[34:35], v[40:41]
	v_add_f64_e32 v[40:41], v[20:21], v[42:43]
	v_add_f64_e32 v[16:17], v[18:19], v[16:17]
	v_fma_f64 v[18:19], v[26:27], s[14:15], v[44:45]
	v_fma_f64 v[20:21], v[22:23], s[14:15], v[46:47]
	;; [unrolled: 1-line block ×4, first 2 shown]
	v_add_f64_e32 v[16:17], v[16:17], v[4:5]
	v_fma_f64 v[18:19], v[34:35], s[16:17], v[18:19]
	v_fma_f64 v[20:21], v[40:41], s[16:17], v[20:21]
	;; [unrolled: 1-line block ×4, first 2 shown]
                                        ; implicit-def: $vgpr26_vgpr27
	ds_store_2addr_b64 v36, v[16:17], v[18:19] offset1:32
	ds_store_2addr_b64 v36, v[20:21], v[22:23] offset0:64 offset1:96
	ds_store_b64 v36, v[4:5] offset:1024
	global_wb scope:SCOPE_SE
	s_wait_dscnt 0x0
	s_barrier_signal -1
	s_barrier_wait -1
	global_inv scope:SCOPE_SE
	s_and_saveexec_b32 s1, s0
	s_cbranch_execnz .LBB0_56
; %bb.54:
	s_wait_alu 0xfffe
	s_or_b32 exec_lo, exec_lo, s1
	s_and_b32 s0, vcc_lo, s0
	s_wait_alu 0xfffe
	s_and_saveexec_b32 s1, s0
	s_cbranch_execnz .LBB0_57
.LBB0_55:
	s_endpgm
.LBB0_56:
	v_add_nc_u32_e32 v4, 0x800, v39
	v_add_nc_u32_e32 v5, 0x1400, v39
	ds_load_2addr_b64 v[16:19], v39 offset1:160
	ds_load_2addr_b64 v[20:23], v4 offset0:64 offset1:224
	ds_load_2addr_b64 v[4:7], v5 offset1:160
	ds_load_b64 v[26:27], v39 offset:7680
	s_wait_alu 0xfffe
	s_or_b32 exec_lo, exec_lo, s1
	s_and_b32 s0, vcc_lo, s0
	s_wait_alu 0xfffe
	s_and_saveexec_b32 s1, s0
	s_cbranch_execz .LBB0_55
.LBB0_57:
	v_mul_u32_u24_e32 v28, 6, v38
	s_mov_b32 s0, 0xe976ee23
	s_mov_b32 s1, 0xbfe11646
	;; [unrolled: 1-line block ×4, first 2 shown]
	v_lshlrev_b32_e32 v28, 4, v28
	s_mov_b32 s7, 0x3fd5d0dc
	s_mov_b32 s6, 0xb247c609
	;; [unrolled: 1-line block ×4, first 2 shown]
	s_clause 0x5
	global_load_b128 v[32:35], v28, s[4:5] offset:2544
	global_load_b128 v[39:42], v28, s[4:5] offset:2592
	;; [unrolled: 1-line block ×6, first 2 shown]
	s_mov_b32 s4, 0x429ad128
	s_mov_b32 s5, 0x3febfeb5
	;; [unrolled: 1-line block ×4, first 2 shown]
	s_wait_loadcnt 0x5
	v_mul_f64_e32 v[28:29], v[12:13], v[34:35]
	s_wait_loadcnt 0x4
	v_mul_f64_e32 v[36:37], v[2:3], v[41:42]
	;; [unrolled: 2-line block ×4, first 2 shown]
	s_wait_dscnt 0x2
	v_mul_f64_e32 v[34:35], v[20:21], v[34:35]
	s_wait_dscnt 0x1
	v_mul_f64_e32 v[41:42], v[6:7], v[41:42]
	v_mul_f64_e32 v[45:46], v[18:19], v[45:46]
	s_wait_dscnt 0x0
	v_mul_f64_e32 v[49:50], v[26:27], v[49:50]
	s_wait_loadcnt 0x1
	v_mul_f64_e32 v[63:64], v[4:5], v[53:54]
	s_wait_loadcnt 0x0
	v_mul_f64_e32 v[65:66], v[22:23], v[57:58]
	v_mul_f64_e32 v[57:58], v[14:15], v[57:58]
	;; [unrolled: 1-line block ×3, first 2 shown]
	v_fma_f64 v[20:21], v[20:21], v[32:33], v[28:29]
	v_fma_f64 v[6:7], v[6:7], v[39:40], v[36:37]
	;; [unrolled: 1-line block ×4, first 2 shown]
	v_fma_f64 v[12:13], v[12:13], v[32:33], -v[34:35]
	v_fma_f64 v[2:3], v[2:3], v[39:40], -v[41:42]
	;; [unrolled: 1-line block ×6, first 2 shown]
	v_fma_f64 v[22:23], v[22:23], v[55:56], v[57:58]
	v_fma_f64 v[4:5], v[4:5], v[51:52], v[53:54]
	v_add_nc_u32_e32 v65, 0x320, v38
	v_add_nc_u32_e32 v62, 0x140, v38
	;; [unrolled: 1-line block ×3, first 2 shown]
	v_add_f64_e32 v[28:29], v[20:21], v[6:7]
	v_add_f64_e64 v[6:7], v[20:21], -v[6:7]
	v_add_f64_e32 v[32:33], v[18:19], v[26:27]
	v_add_f64_e64 v[18:19], v[18:19], -v[26:27]
	;; [unrolled: 2-line block ×4, first 2 shown]
	v_add_f64_e64 v[39:40], v[0:1], -v[14:15]
	v_add_f64_e32 v[0:1], v[0:1], v[14:15]
	v_add_f64_e32 v[12:13], v[4:5], v[22:23]
	v_add_f64_e64 v[4:5], v[4:5], -v[22:23]
	v_add_f64_e32 v[14:15], v[28:29], v[32:33]
	v_add_f64_e64 v[45:46], v[6:7], -v[18:19]
	;; [unrolled: 2-line block ×3, first 2 shown]
	v_add_f64_e64 v[22:23], v[39:40], -v[2:3]
	v_add_f64_e64 v[41:42], v[36:37], -v[0:1]
	;; [unrolled: 1-line block ×5, first 2 shown]
	v_add_f64_e32 v[49:50], v[39:40], v[2:3]
	v_add_f64_e64 v[39:40], v[10:11], -v[39:40]
	v_add_f64_e64 v[51:52], v[18:19], -v[4:5]
	v_add_f64_e32 v[4:5], v[4:5], v[6:7]
	v_add_f64_e32 v[14:15], v[12:13], v[14:15]
	v_add_f64_e64 v[12:13], v[12:13], -v[28:29]
	v_add_f64_e64 v[28:29], v[28:29], -v[32:33]
	;; [unrolled: 1-line block ×3, first 2 shown]
	v_add_f64_e32 v[20:21], v[0:1], v[20:21]
	v_mul_f64_e32 v[36:37], s[4:5], v[43:44]
	s_wait_alu 0xfffe
	v_mul_f64_e32 v[22:23], s[0:1], v[22:23]
	v_mul_f64_e32 v[34:35], s[2:3], v[41:42]
	;; [unrolled: 1-line block ×4, first 2 shown]
	s_mov_b32 s2, 0x36b3c0b5
	s_mov_b32 s3, 0x3fac98ee
	v_add_f64_e32 v[10:11], v[49:50], v[10:11]
	s_mov_b32 s0, 0x37c3f68c
	v_add_f64_e32 v[4:5], v[4:5], v[18:19]
	;; [unrolled: 2-line block ×3, first 2 shown]
	s_wait_alu 0xfffe
	v_mul_f64_e32 v[6:7], s[2:3], v[12:13]
	v_mul_f64_e32 v[16:17], s[4:5], v[45:46]
	v_add_f64_e32 v[0:1], v[8:9], v[20:21]
	v_mul_f64_e32 v[8:9], s[2:3], v[47:48]
	v_fma_f64 v[41:42], v[39:40], s[6:7], v[22:23]
	v_fma_f64 v[53:54], v[32:33], s[14:15], -v[34:35]
	v_fma_f64 v[12:13], v[12:13], s[2:3], v[24:25]
	v_fma_f64 v[49:50], v[51:52], s[6:7], v[26:27]
	s_mov_b32 s7, 0xbfd5d0dc
	v_fma_f64 v[24:25], v[28:29], s[14:15], -v[24:25]
	s_wait_alu 0xfffe
	v_fma_f64 v[36:37], v[39:40], s[6:7], -v[36:37]
	s_mov_b32 s15, 0x3fe77f67
	v_fma_f64 v[22:23], v[43:44], s[4:5], -v[22:23]
	v_fma_f64 v[18:19], v[47:48], s[2:3], v[34:35]
	v_fma_f64 v[26:27], v[45:46], s[4:5], -v[26:27]
	v_mad_co_u64_u32 v[45:46], null, s10, v65, 0
	v_add_nc_u32_e32 v63, 0x1e0, v38
	v_mad_co_u64_u32 v[34:35], null, s10, v62, 0
	v_mad_co_u64_u32 v[47:48], null, s10, v66, 0
	v_fma_f64 v[14:15], v[14:15], s[12:13], v[2:3]
	s_wait_alu 0xfffe
	v_fma_f64 v[6:7], v[28:29], s[14:15], -v[6:7]
	v_fma_f64 v[16:17], v[51:52], s[6:7], -v[16:17]
	v_mad_co_u64_u32 v[28:29], null, s10, v38, 0
	v_fma_f64 v[20:21], v[20:21], s[12:13], v[0:1]
	v_fma_f64 v[8:9], v[32:33], s[14:15], -v[8:9]
	v_fma_f64 v[41:42], v[10:11], s[0:1], v[41:42]
	v_fma_f64 v[49:50], v[4:5], s[0:1], v[49:50]
	v_mad_co_u64_u32 v[51:52], null, s11, v38, v[29:30]
	v_fma_f64 v[36:37], v[10:11], s[0:1], v[36:37]
	v_fma_f64 v[22:23], v[10:11], s[0:1], v[22:23]
	;; [unrolled: 1-line block ×3, first 2 shown]
	v_add_f64_e32 v[12:13], v[12:13], v[14:15]
	v_add_f64_e32 v[55:56], v[6:7], v[14:15]
	v_mov_b32_e32 v6, v46
	v_mad_co_u64_u32 v[39:40], null, s10, v63, 0
	v_add_nc_u32_e32 v64, 0x280, v38
	v_add_f64_e32 v[8:9], v[8:9], v[20:21]
	v_add_f64_e32 v[24:25], v[24:25], v[14:15]
	;; [unrolled: 1-line block ×3, first 2 shown]
	v_fma_f64 v[4:5], v[4:5], s[0:1], v[16:17]
	v_add_f64_e32 v[52:53], v[53:54], v[20:21]
	v_mad_co_u64_u32 v[43:44], null, s10, v64, 0
	v_add_nc_u32_e32 v61, 0xa0, v38
	s_delay_alu instid0(VALU_DEP_2) | instskip(NEXT) | instid1(VALU_DEP_2)
	v_dual_mov_b32 v7, v48 :: v_dual_mov_b32 v38, v44
	v_mad_co_u64_u32 v[32:33], null, s10, v61, 0
	s_delay_alu instid0(VALU_DEP_1) | instskip(SKIP_2) | instid1(VALU_DEP_3)
	v_mov_b32_e32 v29, v33
	v_mov_b32_e32 v33, v35
	;; [unrolled: 1-line block ×3, first 2 shown]
	v_mad_co_u64_u32 v[10:11], null, s11, v61, v[29:30]
	s_delay_alu instid0(VALU_DEP_3) | instskip(NEXT) | instid1(VALU_DEP_3)
	v_mad_co_u64_u32 v[14:15], null, s11, v62, v[33:34]
	v_mad_co_u64_u32 v[15:16], null, s11, v63, v[35:36]
	;; [unrolled: 1-line block ×3, first 2 shown]
	v_add_f64_e64 v[26:27], v[12:13], -v[41:42]
	v_mov_b32_e32 v29, v51
	v_add_co_u32 v51, vcc_lo, s8, v30
	v_mov_b32_e32 v40, v15
	v_mad_co_u64_u32 v[17:18], null, s11, v65, v[6:7]
	v_mov_b32_e32 v44, v16
	v_mad_co_u64_u32 v[6:7], null, s11, v66, v[7:8]
	v_mov_b32_e32 v33, v10
	v_mov_b32_e32 v35, v14
	v_add_f64_e32 v[10:11], v[36:37], v[24:25]
	v_add_f64_e64 v[14:15], v[55:56], -v[22:23]
	v_add_f64_e32 v[18:19], v[22:23], v[55:56]
	v_add_f64_e64 v[22:23], v[24:25], -v[36:37]
	v_mov_b32_e32 v48, v6
	v_add_f64_e32 v[24:25], v[49:50], v[59:60]
	v_add_f64_e32 v[20:21], v[4:5], v[52:53]
	v_mov_b32_e32 v46, v17
	v_add_f64_e64 v[16:17], v[8:9], -v[57:58]
	v_add_f64_e32 v[6:7], v[41:42], v[12:13]
	v_add_f64_e32 v[12:13], v[57:58], v[8:9]
	v_add_f64_e64 v[8:9], v[52:53], -v[4:5]
	v_add_f64_e64 v[4:5], v[59:60], -v[49:50]
	v_lshlrev_b64_e32 v[28:29], 4, v[28:29]
	s_wait_alu 0xfffd
	v_add_co_ci_u32_e32 v54, vcc_lo, s9, v31, vcc_lo
	v_lshlrev_b64_e32 v[30:31], 4, v[32:33]
	v_lshlrev_b64_e32 v[32:33], 4, v[34:35]
	;; [unrolled: 1-line block ×3, first 2 shown]
	v_add_co_u32 v28, vcc_lo, v51, v28
	s_wait_alu 0xfffd
	v_add_co_ci_u32_e32 v29, vcc_lo, v54, v29, vcc_lo
	v_add_co_u32 v30, vcc_lo, v51, v30
	s_wait_alu 0xfffd
	v_add_co_ci_u32_e32 v31, vcc_lo, v54, v31, vcc_lo
	v_lshlrev_b64_e32 v[36:37], 4, v[43:44]
	v_add_co_u32 v32, vcc_lo, v51, v32
	s_wait_alu 0xfffd
	v_add_co_ci_u32_e32 v33, vcc_lo, v54, v33, vcc_lo
	v_lshlrev_b64_e32 v[38:39], 4, v[45:46]
	v_add_co_u32 v34, vcc_lo, v51, v34
	s_wait_alu 0xfffd
	v_add_co_ci_u32_e32 v35, vcc_lo, v54, v35, vcc_lo
	v_lshlrev_b64_e32 v[40:41], 4, v[47:48]
	v_add_co_u32 v36, vcc_lo, v51, v36
	s_wait_alu 0xfffd
	v_add_co_ci_u32_e32 v37, vcc_lo, v54, v37, vcc_lo
	v_add_co_u32 v38, vcc_lo, v51, v38
	s_wait_alu 0xfffd
	v_add_co_ci_u32_e32 v39, vcc_lo, v54, v39, vcc_lo
	;; [unrolled: 3-line block ×3, first 2 shown]
	s_clause 0x6
	global_store_b128 v[28:29], v[0:3], off
	global_store_b128 v[30:31], v[24:27], off
	;; [unrolled: 1-line block ×7, first 2 shown]
	s_nop 0
	s_sendmsg sendmsg(MSG_DEALLOC_VGPRS)
	s_endpgm
	.section	.rodata,"a",@progbits
	.p2align	6, 0x0
	.amdhsa_kernel fft_rtc_fwd_len1120_factors_2_2_2_2_2_5_7_wgs_224_tpt_224_halfLds_dp_ip_CI_sbrr_dirReg
		.amdhsa_group_segment_fixed_size 0
		.amdhsa_private_segment_fixed_size 0
		.amdhsa_kernarg_size 88
		.amdhsa_user_sgpr_count 2
		.amdhsa_user_sgpr_dispatch_ptr 0
		.amdhsa_user_sgpr_queue_ptr 0
		.amdhsa_user_sgpr_kernarg_segment_ptr 1
		.amdhsa_user_sgpr_dispatch_id 0
		.amdhsa_user_sgpr_private_segment_size 0
		.amdhsa_wavefront_size32 1
		.amdhsa_uses_dynamic_stack 0
		.amdhsa_enable_private_segment 0
		.amdhsa_system_sgpr_workgroup_id_x 1
		.amdhsa_system_sgpr_workgroup_id_y 0
		.amdhsa_system_sgpr_workgroup_id_z 0
		.amdhsa_system_sgpr_workgroup_info 0
		.amdhsa_system_vgpr_workitem_id 0
		.amdhsa_next_free_vgpr 67
		.amdhsa_next_free_sgpr 35
		.amdhsa_reserve_vcc 1
		.amdhsa_float_round_mode_32 0
		.amdhsa_float_round_mode_16_64 0
		.amdhsa_float_denorm_mode_32 3
		.amdhsa_float_denorm_mode_16_64 3
		.amdhsa_fp16_overflow 0
		.amdhsa_workgroup_processor_mode 1
		.amdhsa_memory_ordered 1
		.amdhsa_forward_progress 0
		.amdhsa_round_robin_scheduling 0
		.amdhsa_exception_fp_ieee_invalid_op 0
		.amdhsa_exception_fp_denorm_src 0
		.amdhsa_exception_fp_ieee_div_zero 0
		.amdhsa_exception_fp_ieee_overflow 0
		.amdhsa_exception_fp_ieee_underflow 0
		.amdhsa_exception_fp_ieee_inexact 0
		.amdhsa_exception_int_div_zero 0
	.end_amdhsa_kernel
	.text
.Lfunc_end0:
	.size	fft_rtc_fwd_len1120_factors_2_2_2_2_2_5_7_wgs_224_tpt_224_halfLds_dp_ip_CI_sbrr_dirReg, .Lfunc_end0-fft_rtc_fwd_len1120_factors_2_2_2_2_2_5_7_wgs_224_tpt_224_halfLds_dp_ip_CI_sbrr_dirReg
                                        ; -- End function
	.section	.AMDGPU.csdata,"",@progbits
; Kernel info:
; codeLenInByte = 7408
; NumSgprs: 37
; NumVgprs: 67
; ScratchSize: 0
; MemoryBound: 1
; FloatMode: 240
; IeeeMode: 1
; LDSByteSize: 0 bytes/workgroup (compile time only)
; SGPRBlocks: 4
; VGPRBlocks: 8
; NumSGPRsForWavesPerEU: 37
; NumVGPRsForWavesPerEU: 67
; Occupancy: 16
; WaveLimiterHint : 1
; COMPUTE_PGM_RSRC2:SCRATCH_EN: 0
; COMPUTE_PGM_RSRC2:USER_SGPR: 2
; COMPUTE_PGM_RSRC2:TRAP_HANDLER: 0
; COMPUTE_PGM_RSRC2:TGID_X_EN: 1
; COMPUTE_PGM_RSRC2:TGID_Y_EN: 0
; COMPUTE_PGM_RSRC2:TGID_Z_EN: 0
; COMPUTE_PGM_RSRC2:TIDIG_COMP_CNT: 0
	.text
	.p2alignl 7, 3214868480
	.fill 96, 4, 3214868480
	.type	__hip_cuid_8de6e09eaa5103ae,@object ; @__hip_cuid_8de6e09eaa5103ae
	.section	.bss,"aw",@nobits
	.globl	__hip_cuid_8de6e09eaa5103ae
__hip_cuid_8de6e09eaa5103ae:
	.byte	0                               ; 0x0
	.size	__hip_cuid_8de6e09eaa5103ae, 1

	.ident	"AMD clang version 19.0.0git (https://github.com/RadeonOpenCompute/llvm-project roc-6.4.0 25133 c7fe45cf4b819c5991fe208aaa96edf142730f1d)"
	.section	".note.GNU-stack","",@progbits
	.addrsig
	.addrsig_sym __hip_cuid_8de6e09eaa5103ae
	.amdgpu_metadata
---
amdhsa.kernels:
  - .args:
      - .actual_access:  read_only
        .address_space:  global
        .offset:         0
        .size:           8
        .value_kind:     global_buffer
      - .offset:         8
        .size:           8
        .value_kind:     by_value
      - .actual_access:  read_only
        .address_space:  global
        .offset:         16
        .size:           8
        .value_kind:     global_buffer
      - .actual_access:  read_only
        .address_space:  global
        .offset:         24
        .size:           8
        .value_kind:     global_buffer
      - .offset:         32
        .size:           8
        .value_kind:     by_value
      - .actual_access:  read_only
        .address_space:  global
        .offset:         40
        .size:           8
        .value_kind:     global_buffer
      - .actual_access:  read_only
        .address_space:  global
        .offset:         48
        .size:           8
        .value_kind:     global_buffer
      - .offset:         56
        .size:           4
        .value_kind:     by_value
      - .actual_access:  read_only
        .address_space:  global
        .offset:         64
        .size:           8
        .value_kind:     global_buffer
      - .actual_access:  read_only
        .address_space:  global
        .offset:         72
        .size:           8
        .value_kind:     global_buffer
      - .address_space:  global
        .offset:         80
        .size:           8
        .value_kind:     global_buffer
    .group_segment_fixed_size: 0
    .kernarg_segment_align: 8
    .kernarg_segment_size: 88
    .language:       OpenCL C
    .language_version:
      - 2
      - 0
    .max_flat_workgroup_size: 224
    .name:           fft_rtc_fwd_len1120_factors_2_2_2_2_2_5_7_wgs_224_tpt_224_halfLds_dp_ip_CI_sbrr_dirReg
    .private_segment_fixed_size: 0
    .sgpr_count:     37
    .sgpr_spill_count: 0
    .symbol:         fft_rtc_fwd_len1120_factors_2_2_2_2_2_5_7_wgs_224_tpt_224_halfLds_dp_ip_CI_sbrr_dirReg.kd
    .uniform_work_group_size: 1
    .uses_dynamic_stack: false
    .vgpr_count:     67
    .vgpr_spill_count: 0
    .wavefront_size: 32
    .workgroup_processor_mode: 1
amdhsa.target:   amdgcn-amd-amdhsa--gfx1201
amdhsa.version:
  - 1
  - 2
...

	.end_amdgpu_metadata
